;; amdgpu-corpus repo=zjin-lcf/HeCBench kind=compiled arch=gfx906 opt=O3
	.amdgcn_target "amdgcn-amd-amdhsa--gfx906"
	.amdhsa_code_object_version 6
	.section	.text._Z10testKernelIiEvPT_m,"axG",@progbits,_Z10testKernelIiEvPT_m,comdat
	.protected	_Z10testKernelIiEvPT_m  ; -- Begin function _Z10testKernelIiEvPT_m
	.globl	_Z10testKernelIiEvPT_m
	.p2align	8
	.type	_Z10testKernelIiEvPT_m,@function
_Z10testKernelIiEvPT_m:                 ; @_Z10testKernelIiEvPT_m
; %bb.0:
	s_load_dword s7, s[4:5], 0x1c
	s_load_dwordx4 s[0:3], s[4:5], 0x0
	v_mov_b32_e32 v1, 0
	s_waitcnt lgkmcnt(0)
	s_and_b32 s4, s7, 0xffff
	s_mul_i32 s6, s6, s4
	v_add_u32_e32 v0, s6, v0
	v_cmp_gt_u64_e32 vcc, s[2:3], v[0:1]
	s_and_saveexec_b64 s[2:3], vcc
	s_cbranch_execz .LBB0_26
; %bb.1:
	s_mov_b64 s[4:5], exec
	v_mbcnt_lo_u32_b32 v1, s4, 0
	v_mbcnt_hi_u32_b32 v1, s5, v1
	v_cmp_eq_u32_e32 vcc, 0, v1
	s_and_saveexec_b64 s[2:3], vcc
	s_cbranch_execz .LBB0_3
; %bb.2:
	s_bcnt1_i32_b64 s4, s[4:5]
	s_mul_i32 s4, s4, 10
	v_mov_b32_e32 v1, 0
	v_mov_b32_e32 v2, s4
	global_atomic_add v1, v2, s[0:1]
.LBB0_3:
	s_or_b64 exec, exec, s[2:3]
	s_mov_b64 s[4:5], exec
	v_mbcnt_lo_u32_b32 v1, s4, 0
	v_mbcnt_hi_u32_b32 v1, s5, v1
	v_cmp_eq_u32_e32 vcc, 0, v1
	s_and_saveexec_b64 s[2:3], vcc
	s_cbranch_execz .LBB0_5
; %bb.4:
	s_bcnt1_i32_b64 s4, s[4:5]
	s_mul_i32 s4, s4, -10
	v_mov_b32_e32 v1, 0
	v_mov_b32_e32 v2, s4
	global_atomic_add v1, v2, s[0:1] offset:4
.LBB0_5:
	s_or_b64 exec, exec, s[2:3]
	s_mov_b64 s[2:3], exec
	s_brev_b32 s4, 1
.LBB0_6:                                ; =>This Inner Loop Header: Depth=1
	s_ff1_i32_b64 s5, s[2:3]
	v_readlane_b32 s8, v0, s5
	s_lshl_b64 s[6:7], 1, s5
	s_max_i32 s4, s4, s8
	s_andn2_b64 s[2:3], s[2:3], s[6:7]
	s_cmp_lg_u64 s[2:3], 0
	s_cbranch_scc1 .LBB0_6
; %bb.7:
	v_mbcnt_lo_u32_b32 v1, exec_lo, 0
	v_mbcnt_hi_u32_b32 v1, exec_hi, v1
	v_cmp_eq_u32_e32 vcc, 0, v1
	s_and_saveexec_b64 s[2:3], vcc
	s_xor_b64 s[2:3], exec, s[2:3]
	s_cbranch_execz .LBB0_9
; %bb.8:
	v_mov_b32_e32 v1, 0
	v_mov_b32_e32 v2, s4
	global_atomic_smax v1, v2, s[0:1] offset:8
.LBB0_9:
	s_or_b64 exec, exec, s[2:3]
	s_mov_b64 s[2:3], exec
	s_brev_b32 s4, -2
.LBB0_10:                               ; =>This Inner Loop Header: Depth=1
	s_ff1_i32_b64 s5, s[2:3]
	v_readlane_b32 s8, v0, s5
	s_lshl_b64 s[6:7], 1, s5
	s_min_i32 s4, s4, s8
	s_andn2_b64 s[2:3], s[2:3], s[6:7]
	s_cmp_lg_u64 s[2:3], 0
	s_cbranch_scc1 .LBB0_10
; %bb.11:
	v_mbcnt_lo_u32_b32 v1, exec_lo, 0
	v_mbcnt_hi_u32_b32 v1, exec_hi, v1
	v_cmp_eq_u32_e32 vcc, 0, v1
	s_and_saveexec_b64 s[2:3], vcc
	s_xor_b64 s[2:3], exec, s[2:3]
	s_cbranch_execz .LBB0_13
; %bb.12:
	v_mov_b32_e32 v1, 0
	v_mov_b32_e32 v2, s4
	global_atomic_smin v1, v2, s[0:1] offset:12
.LBB0_13:
	s_or_b64 exec, exec, s[2:3]
	s_mov_b64 s[2:3], exec
	v_lshl_add_u32 v1, v0, 1, 7
	s_mov_b32 s5, -1
.LBB0_14:                               ; =>This Inner Loop Header: Depth=1
	s_ff1_i32_b64 s4, s[2:3]
	v_readlane_b32 s8, v1, s4
	s_lshl_b64 s[6:7], 1, s4
	s_and_b32 s5, s5, s8
	s_andn2_b64 s[2:3], s[2:3], s[6:7]
	s_cmp_lg_u64 s[2:3], 0
	s_cbranch_scc1 .LBB0_14
; %bb.15:
	v_mbcnt_lo_u32_b32 v1, exec_lo, 0
	v_mbcnt_hi_u32_b32 v1, exec_hi, v1
	s_mov_b32 s4, 0
	v_cmp_eq_u32_e32 vcc, 0, v1
	s_and_saveexec_b64 s[2:3], vcc
	s_xor_b64 s[2:3], exec, s[2:3]
	s_cbranch_execz .LBB0_17
; %bb.16:
	v_mov_b32_e32 v1, 0
	v_mov_b32_e32 v2, s5
	global_atomic_and v1, v2, s[0:1] offset:16
.LBB0_17:
	s_or_b64 exec, exec, s[2:3]
	s_mov_b64 s[2:3], exec
	v_lshlrev_b32_e64 v1, v0, 1
.LBB0_18:                               ; =>This Inner Loop Header: Depth=1
	s_ff1_i32_b64 s5, s[2:3]
	v_readlane_b32 s8, v1, s5
	s_lshl_b64 s[6:7], 1, s5
	s_or_b32 s4, s4, s8
	s_andn2_b64 s[2:3], s[2:3], s[6:7]
	s_cmp_lg_u64 s[2:3], 0
	s_cbranch_scc1 .LBB0_18
; %bb.19:
	v_mbcnt_lo_u32_b32 v1, exec_lo, 0
	v_mbcnt_hi_u32_b32 v1, exec_hi, v1
	s_mov_b32 s5, 0
	v_cmp_eq_u32_e32 vcc, 0, v1
	s_and_saveexec_b64 s[2:3], vcc
	s_xor_b64 s[2:3], exec, s[2:3]
	s_cbranch_execz .LBB0_21
; %bb.20:
	v_mov_b32_e32 v1, 0
	v_mov_b32_e32 v2, s4
	global_atomic_or v1, v2, s[0:1] offset:20
.LBB0_21:
	s_or_b64 exec, exec, s[2:3]
	s_mov_b64 s[2:3], exec
.LBB0_22:                               ; =>This Inner Loop Header: Depth=1
	s_ff1_i32_b64 s4, s[2:3]
	v_readlane_b32 s8, v0, s4
	s_lshl_b64 s[6:7], 1, s4
	s_xor_b32 s5, s5, s8
	s_andn2_b64 s[2:3], s[2:3], s[6:7]
	s_cmp_lg_u64 s[2:3], 0
	s_cbranch_scc1 .LBB0_22
; %bb.23:
	v_mbcnt_lo_u32_b32 v0, exec_lo, 0
	v_mbcnt_hi_u32_b32 v0, exec_hi, v0
	v_cmp_eq_u32_e32 vcc, 0, v0
	s_and_saveexec_b64 s[2:3], vcc
	s_xor_b64 s[2:3], exec, s[2:3]
	s_cbranch_execz .LBB0_25
; %bb.24:
	v_mov_b32_e32 v0, 0
	v_mov_b32_e32 v1, s5
	global_atomic_xor v0, v1, s[0:1] offset:24
.LBB0_25:
	s_or_b64 exec, exec, s[2:3]
	v_mov_b32_e32 v0, 0
	v_mov_b32_e32 v1, 17
	global_atomic_inc v0, v1, s[0:1] offset:28
	v_mov_b32_e32 v1, 0x89
	global_atomic_dec v0, v1, s[0:1] offset:32
.LBB0_26:
	s_endpgm
	.section	.rodata,"a",@progbits
	.p2align	6, 0x0
	.amdhsa_kernel _Z10testKernelIiEvPT_m
		.amdhsa_group_segment_fixed_size 0
		.amdhsa_private_segment_fixed_size 0
		.amdhsa_kernarg_size 272
		.amdhsa_user_sgpr_count 6
		.amdhsa_user_sgpr_private_segment_buffer 1
		.amdhsa_user_sgpr_dispatch_ptr 0
		.amdhsa_user_sgpr_queue_ptr 0
		.amdhsa_user_sgpr_kernarg_segment_ptr 1
		.amdhsa_user_sgpr_dispatch_id 0
		.amdhsa_user_sgpr_flat_scratch_init 0
		.amdhsa_user_sgpr_private_segment_size 0
		.amdhsa_uses_dynamic_stack 0
		.amdhsa_system_sgpr_private_segment_wavefront_offset 0
		.amdhsa_system_sgpr_workgroup_id_x 1
		.amdhsa_system_sgpr_workgroup_id_y 0
		.amdhsa_system_sgpr_workgroup_id_z 0
		.amdhsa_system_sgpr_workgroup_info 0
		.amdhsa_system_vgpr_workitem_id 0
		.amdhsa_next_free_vgpr 3
		.amdhsa_next_free_sgpr 9
		.amdhsa_reserve_vcc 1
		.amdhsa_reserve_flat_scratch 0
		.amdhsa_float_round_mode_32 0
		.amdhsa_float_round_mode_16_64 0
		.amdhsa_float_denorm_mode_32 3
		.amdhsa_float_denorm_mode_16_64 3
		.amdhsa_dx10_clamp 1
		.amdhsa_ieee_mode 1
		.amdhsa_fp16_overflow 0
		.amdhsa_exception_fp_ieee_invalid_op 0
		.amdhsa_exception_fp_denorm_src 0
		.amdhsa_exception_fp_ieee_div_zero 0
		.amdhsa_exception_fp_ieee_overflow 0
		.amdhsa_exception_fp_ieee_underflow 0
		.amdhsa_exception_fp_ieee_inexact 0
		.amdhsa_exception_int_div_zero 0
	.end_amdhsa_kernel
	.section	.text._Z10testKernelIiEvPT_m,"axG",@progbits,_Z10testKernelIiEvPT_m,comdat
.Lfunc_end0:
	.size	_Z10testKernelIiEvPT_m, .Lfunc_end0-_Z10testKernelIiEvPT_m
                                        ; -- End function
	.set _Z10testKernelIiEvPT_m.num_vgpr, 3
	.set _Z10testKernelIiEvPT_m.num_agpr, 0
	.set _Z10testKernelIiEvPT_m.numbered_sgpr, 9
	.set _Z10testKernelIiEvPT_m.num_named_barrier, 0
	.set _Z10testKernelIiEvPT_m.private_seg_size, 0
	.set _Z10testKernelIiEvPT_m.uses_vcc, 1
	.set _Z10testKernelIiEvPT_m.uses_flat_scratch, 0
	.set _Z10testKernelIiEvPT_m.has_dyn_sized_stack, 0
	.set _Z10testKernelIiEvPT_m.has_recursion, 0
	.set _Z10testKernelIiEvPT_m.has_indirect_call, 0
	.section	.AMDGPU.csdata,"",@progbits
; Kernel info:
; codeLenInByte = 684
; TotalNumSgprs: 13
; NumVgprs: 3
; ScratchSize: 0
; MemoryBound: 0
; FloatMode: 240
; IeeeMode: 1
; LDSByteSize: 0 bytes/workgroup (compile time only)
; SGPRBlocks: 1
; VGPRBlocks: 0
; NumSGPRsForWavesPerEU: 13
; NumVGPRsForWavesPerEU: 3
; Occupancy: 10
; WaveLimiterHint : 0
; COMPUTE_PGM_RSRC2:SCRATCH_EN: 0
; COMPUTE_PGM_RSRC2:USER_SGPR: 6
; COMPUTE_PGM_RSRC2:TRAP_HANDLER: 0
; COMPUTE_PGM_RSRC2:TGID_X_EN: 1
; COMPUTE_PGM_RSRC2:TGID_Y_EN: 0
; COMPUTE_PGM_RSRC2:TGID_Z_EN: 0
; COMPUTE_PGM_RSRC2:TIDIG_COMP_CNT: 0
	.section	.text._Z10testKernelIjEvPT_m,"axG",@progbits,_Z10testKernelIjEvPT_m,comdat
	.protected	_Z10testKernelIjEvPT_m  ; -- Begin function _Z10testKernelIjEvPT_m
	.globl	_Z10testKernelIjEvPT_m
	.p2align	8
	.type	_Z10testKernelIjEvPT_m,@function
_Z10testKernelIjEvPT_m:                 ; @_Z10testKernelIjEvPT_m
; %bb.0:
	s_load_dword s7, s[4:5], 0x1c
	s_load_dwordx4 s[0:3], s[4:5], 0x0
	v_mov_b32_e32 v1, 0
	s_waitcnt lgkmcnt(0)
	s_and_b32 s4, s7, 0xffff
	s_mul_i32 s6, s6, s4
	v_add_u32_e32 v0, s6, v0
	v_cmp_gt_u64_e32 vcc, s[2:3], v[0:1]
	s_and_saveexec_b64 s[2:3], vcc
	s_cbranch_execz .LBB1_26
; %bb.1:
	s_mov_b64 s[4:5], exec
	v_mbcnt_lo_u32_b32 v1, s4, 0
	v_mbcnt_hi_u32_b32 v1, s5, v1
	v_cmp_eq_u32_e32 vcc, 0, v1
	s_and_saveexec_b64 s[2:3], vcc
	s_cbranch_execz .LBB1_3
; %bb.2:
	s_bcnt1_i32_b64 s4, s[4:5]
	s_mul_i32 s4, s4, 10
	v_mov_b32_e32 v1, 0
	v_mov_b32_e32 v2, s4
	global_atomic_add v1, v2, s[0:1]
.LBB1_3:
	s_or_b64 exec, exec, s[2:3]
	s_mov_b64 s[4:5], exec
	v_mbcnt_lo_u32_b32 v1, s4, 0
	v_mbcnt_hi_u32_b32 v1, s5, v1
	v_cmp_eq_u32_e32 vcc, 0, v1
	s_and_saveexec_b64 s[2:3], vcc
	s_cbranch_execz .LBB1_5
; %bb.4:
	s_bcnt1_i32_b64 s4, s[4:5]
	s_mul_i32 s4, s4, -10
	v_mov_b32_e32 v1, 0
	v_mov_b32_e32 v2, s4
	global_atomic_add v1, v2, s[0:1] offset:4
.LBB1_5:
	s_or_b64 exec, exec, s[2:3]
	s_mov_b64 s[2:3], exec
	s_mov_b32 s4, 0
.LBB1_6:                                ; =>This Inner Loop Header: Depth=1
	s_ff1_i32_b64 s5, s[2:3]
	v_readlane_b32 s8, v0, s5
	s_lshl_b64 s[6:7], 1, s5
	s_max_u32 s4, s4, s8
	s_andn2_b64 s[2:3], s[2:3], s[6:7]
	s_cmp_lg_u64 s[2:3], 0
	s_cbranch_scc1 .LBB1_6
; %bb.7:
	v_mbcnt_lo_u32_b32 v1, exec_lo, 0
	v_mbcnt_hi_u32_b32 v1, exec_hi, v1
	v_cmp_eq_u32_e32 vcc, 0, v1
	s_and_saveexec_b64 s[2:3], vcc
	s_xor_b64 s[2:3], exec, s[2:3]
	s_cbranch_execz .LBB1_9
; %bb.8:
	v_mov_b32_e32 v1, 0
	v_mov_b32_e32 v2, s4
	global_atomic_umax v1, v2, s[0:1] offset:8
.LBB1_9:
	s_or_b64 exec, exec, s[2:3]
	s_mov_b64 s[2:3], exec
	s_mov_b32 s4, -1
.LBB1_10:                               ; =>This Inner Loop Header: Depth=1
	s_ff1_i32_b64 s5, s[2:3]
	v_readlane_b32 s8, v0, s5
	s_lshl_b64 s[6:7], 1, s5
	s_min_u32 s4, s4, s8
	s_andn2_b64 s[2:3], s[2:3], s[6:7]
	s_cmp_lg_u64 s[2:3], 0
	s_cbranch_scc1 .LBB1_10
; %bb.11:
	v_mbcnt_lo_u32_b32 v1, exec_lo, 0
	v_mbcnt_hi_u32_b32 v1, exec_hi, v1
	v_cmp_eq_u32_e32 vcc, 0, v1
	s_and_saveexec_b64 s[2:3], vcc
	s_xor_b64 s[2:3], exec, s[2:3]
	s_cbranch_execz .LBB1_13
; %bb.12:
	v_mov_b32_e32 v1, 0
	v_mov_b32_e32 v2, s4
	global_atomic_umin v1, v2, s[0:1] offset:12
.LBB1_13:
	s_or_b64 exec, exec, s[2:3]
	s_mov_b64 s[2:3], exec
	v_lshl_add_u32 v1, v0, 1, 7
	s_mov_b32 s5, -1
.LBB1_14:                               ; =>This Inner Loop Header: Depth=1
	s_ff1_i32_b64 s4, s[2:3]
	v_readlane_b32 s8, v1, s4
	s_lshl_b64 s[6:7], 1, s4
	s_and_b32 s5, s5, s8
	s_andn2_b64 s[2:3], s[2:3], s[6:7]
	s_cmp_lg_u64 s[2:3], 0
	s_cbranch_scc1 .LBB1_14
; %bb.15:
	v_mbcnt_lo_u32_b32 v1, exec_lo, 0
	v_mbcnt_hi_u32_b32 v1, exec_hi, v1
	s_mov_b32 s4, 0
	v_cmp_eq_u32_e32 vcc, 0, v1
	s_and_saveexec_b64 s[2:3], vcc
	s_xor_b64 s[2:3], exec, s[2:3]
	s_cbranch_execz .LBB1_17
; %bb.16:
	v_mov_b32_e32 v1, 0
	v_mov_b32_e32 v2, s5
	global_atomic_and v1, v2, s[0:1] offset:16
.LBB1_17:
	s_or_b64 exec, exec, s[2:3]
	s_mov_b64 s[2:3], exec
	v_lshlrev_b32_e64 v1, v0, 1
.LBB1_18:                               ; =>This Inner Loop Header: Depth=1
	s_ff1_i32_b64 s5, s[2:3]
	v_readlane_b32 s8, v1, s5
	s_lshl_b64 s[6:7], 1, s5
	s_or_b32 s4, s4, s8
	s_andn2_b64 s[2:3], s[2:3], s[6:7]
	s_cmp_lg_u64 s[2:3], 0
	s_cbranch_scc1 .LBB1_18
; %bb.19:
	v_mbcnt_lo_u32_b32 v1, exec_lo, 0
	v_mbcnt_hi_u32_b32 v1, exec_hi, v1
	s_mov_b32 s5, 0
	v_cmp_eq_u32_e32 vcc, 0, v1
	s_and_saveexec_b64 s[2:3], vcc
	s_xor_b64 s[2:3], exec, s[2:3]
	s_cbranch_execz .LBB1_21
; %bb.20:
	v_mov_b32_e32 v1, 0
	v_mov_b32_e32 v2, s4
	global_atomic_or v1, v2, s[0:1] offset:20
.LBB1_21:
	s_or_b64 exec, exec, s[2:3]
	s_mov_b64 s[2:3], exec
.LBB1_22:                               ; =>This Inner Loop Header: Depth=1
	s_ff1_i32_b64 s4, s[2:3]
	v_readlane_b32 s8, v0, s4
	s_lshl_b64 s[6:7], 1, s4
	s_xor_b32 s5, s5, s8
	s_andn2_b64 s[2:3], s[2:3], s[6:7]
	s_cmp_lg_u64 s[2:3], 0
	s_cbranch_scc1 .LBB1_22
; %bb.23:
	v_mbcnt_lo_u32_b32 v0, exec_lo, 0
	v_mbcnt_hi_u32_b32 v0, exec_hi, v0
	v_cmp_eq_u32_e32 vcc, 0, v0
	s_and_saveexec_b64 s[2:3], vcc
	s_xor_b64 s[2:3], exec, s[2:3]
	s_cbranch_execz .LBB1_25
; %bb.24:
	v_mov_b32_e32 v0, 0
	v_mov_b32_e32 v1, s5
	global_atomic_xor v0, v1, s[0:1] offset:24
.LBB1_25:
	s_or_b64 exec, exec, s[2:3]
	v_mov_b32_e32 v0, 0
	v_mov_b32_e32 v1, 17
	global_atomic_inc v0, v1, s[0:1] offset:28
	v_mov_b32_e32 v1, 0x89
	global_atomic_dec v0, v1, s[0:1] offset:32
.LBB1_26:
	s_endpgm
	.section	.rodata,"a",@progbits
	.p2align	6, 0x0
	.amdhsa_kernel _Z10testKernelIjEvPT_m
		.amdhsa_group_segment_fixed_size 0
		.amdhsa_private_segment_fixed_size 0
		.amdhsa_kernarg_size 272
		.amdhsa_user_sgpr_count 6
		.amdhsa_user_sgpr_private_segment_buffer 1
		.amdhsa_user_sgpr_dispatch_ptr 0
		.amdhsa_user_sgpr_queue_ptr 0
		.amdhsa_user_sgpr_kernarg_segment_ptr 1
		.amdhsa_user_sgpr_dispatch_id 0
		.amdhsa_user_sgpr_flat_scratch_init 0
		.amdhsa_user_sgpr_private_segment_size 0
		.amdhsa_uses_dynamic_stack 0
		.amdhsa_system_sgpr_private_segment_wavefront_offset 0
		.amdhsa_system_sgpr_workgroup_id_x 1
		.amdhsa_system_sgpr_workgroup_id_y 0
		.amdhsa_system_sgpr_workgroup_id_z 0
		.amdhsa_system_sgpr_workgroup_info 0
		.amdhsa_system_vgpr_workitem_id 0
		.amdhsa_next_free_vgpr 3
		.amdhsa_next_free_sgpr 9
		.amdhsa_reserve_vcc 1
		.amdhsa_reserve_flat_scratch 0
		.amdhsa_float_round_mode_32 0
		.amdhsa_float_round_mode_16_64 0
		.amdhsa_float_denorm_mode_32 3
		.amdhsa_float_denorm_mode_16_64 3
		.amdhsa_dx10_clamp 1
		.amdhsa_ieee_mode 1
		.amdhsa_fp16_overflow 0
		.amdhsa_exception_fp_ieee_invalid_op 0
		.amdhsa_exception_fp_denorm_src 0
		.amdhsa_exception_fp_ieee_div_zero 0
		.amdhsa_exception_fp_ieee_overflow 0
		.amdhsa_exception_fp_ieee_underflow 0
		.amdhsa_exception_fp_ieee_inexact 0
		.amdhsa_exception_int_div_zero 0
	.end_amdhsa_kernel
	.section	.text._Z10testKernelIjEvPT_m,"axG",@progbits,_Z10testKernelIjEvPT_m,comdat
.Lfunc_end1:
	.size	_Z10testKernelIjEvPT_m, .Lfunc_end1-_Z10testKernelIjEvPT_m
                                        ; -- End function
	.set _Z10testKernelIjEvPT_m.num_vgpr, 3
	.set _Z10testKernelIjEvPT_m.num_agpr, 0
	.set _Z10testKernelIjEvPT_m.numbered_sgpr, 9
	.set _Z10testKernelIjEvPT_m.num_named_barrier, 0
	.set _Z10testKernelIjEvPT_m.private_seg_size, 0
	.set _Z10testKernelIjEvPT_m.uses_vcc, 1
	.set _Z10testKernelIjEvPT_m.uses_flat_scratch, 0
	.set _Z10testKernelIjEvPT_m.has_dyn_sized_stack, 0
	.set _Z10testKernelIjEvPT_m.has_recursion, 0
	.set _Z10testKernelIjEvPT_m.has_indirect_call, 0
	.section	.AMDGPU.csdata,"",@progbits
; Kernel info:
; codeLenInByte = 684
; TotalNumSgprs: 13
; NumVgprs: 3
; ScratchSize: 0
; MemoryBound: 0
; FloatMode: 240
; IeeeMode: 1
; LDSByteSize: 0 bytes/workgroup (compile time only)
; SGPRBlocks: 1
; VGPRBlocks: 0
; NumSGPRsForWavesPerEU: 13
; NumVGPRsForWavesPerEU: 3
; Occupancy: 10
; WaveLimiterHint : 0
; COMPUTE_PGM_RSRC2:SCRATCH_EN: 0
; COMPUTE_PGM_RSRC2:USER_SGPR: 6
; COMPUTE_PGM_RSRC2:TRAP_HANDLER: 0
; COMPUTE_PGM_RSRC2:TGID_X_EN: 1
; COMPUTE_PGM_RSRC2:TGID_Y_EN: 0
; COMPUTE_PGM_RSRC2:TGID_Z_EN: 0
; COMPUTE_PGM_RSRC2:TIDIG_COMP_CNT: 0
	.section	.AMDGPU.gpr_maximums,"",@progbits
	.set amdgpu.max_num_vgpr, 0
	.set amdgpu.max_num_agpr, 0
	.set amdgpu.max_num_sgpr, 0
	.section	.AMDGPU.csdata,"",@progbits
	.type	__hip_cuid_8e4291615fb9e893,@object ; @__hip_cuid_8e4291615fb9e893
	.section	.bss,"aw",@nobits
	.globl	__hip_cuid_8e4291615fb9e893
__hip_cuid_8e4291615fb9e893:
	.byte	0                               ; 0x0
	.size	__hip_cuid_8e4291615fb9e893, 1

	.ident	"AMD clang version 22.0.0git (https://github.com/RadeonOpenCompute/llvm-project roc-7.2.4 26084 f58b06dce1f9c15707c5f808fd002e18c2accf7e)"
	.section	".note.GNU-stack","",@progbits
	.addrsig
	.addrsig_sym __hip_cuid_8e4291615fb9e893
	.amdgpu_metadata
---
amdhsa.kernels:
  - .args:
      - .address_space:  global
        .offset:         0
        .size:           8
        .value_kind:     global_buffer
      - .offset:         8
        .size:           8
        .value_kind:     by_value
      - .offset:         16
        .size:           4
        .value_kind:     hidden_block_count_x
      - .offset:         20
        .size:           4
        .value_kind:     hidden_block_count_y
      - .offset:         24
        .size:           4
        .value_kind:     hidden_block_count_z
      - .offset:         28
        .size:           2
        .value_kind:     hidden_group_size_x
      - .offset:         30
        .size:           2
        .value_kind:     hidden_group_size_y
      - .offset:         32
        .size:           2
        .value_kind:     hidden_group_size_z
      - .offset:         34
        .size:           2
        .value_kind:     hidden_remainder_x
      - .offset:         36
        .size:           2
        .value_kind:     hidden_remainder_y
      - .offset:         38
        .size:           2
        .value_kind:     hidden_remainder_z
      - .offset:         56
        .size:           8
        .value_kind:     hidden_global_offset_x
      - .offset:         64
        .size:           8
        .value_kind:     hidden_global_offset_y
      - .offset:         72
        .size:           8
        .value_kind:     hidden_global_offset_z
      - .offset:         80
        .size:           2
        .value_kind:     hidden_grid_dims
    .group_segment_fixed_size: 0
    .kernarg_segment_align: 8
    .kernarg_segment_size: 272
    .language:       OpenCL C
    .language_version:
      - 2
      - 0
    .max_flat_workgroup_size: 1024
    .name:           _Z10testKernelIiEvPT_m
    .private_segment_fixed_size: 0
    .sgpr_count:     13
    .sgpr_spill_count: 0
    .symbol:         _Z10testKernelIiEvPT_m.kd
    .uniform_work_group_size: 1
    .uses_dynamic_stack: false
    .vgpr_count:     3
    .vgpr_spill_count: 0
    .wavefront_size: 64
  - .args:
      - .address_space:  global
        .offset:         0
        .size:           8
        .value_kind:     global_buffer
      - .offset:         8
        .size:           8
        .value_kind:     by_value
      - .offset:         16
        .size:           4
        .value_kind:     hidden_block_count_x
      - .offset:         20
        .size:           4
        .value_kind:     hidden_block_count_y
      - .offset:         24
        .size:           4
        .value_kind:     hidden_block_count_z
      - .offset:         28
        .size:           2
        .value_kind:     hidden_group_size_x
      - .offset:         30
        .size:           2
        .value_kind:     hidden_group_size_y
      - .offset:         32
        .size:           2
        .value_kind:     hidden_group_size_z
      - .offset:         34
        .size:           2
        .value_kind:     hidden_remainder_x
      - .offset:         36
        .size:           2
        .value_kind:     hidden_remainder_y
      - .offset:         38
        .size:           2
        .value_kind:     hidden_remainder_z
      - .offset:         56
        .size:           8
        .value_kind:     hidden_global_offset_x
      - .offset:         64
        .size:           8
        .value_kind:     hidden_global_offset_y
      - .offset:         72
        .size:           8
        .value_kind:     hidden_global_offset_z
      - .offset:         80
        .size:           2
        .value_kind:     hidden_grid_dims
    .group_segment_fixed_size: 0
    .kernarg_segment_align: 8
    .kernarg_segment_size: 272
    .language:       OpenCL C
    .language_version:
      - 2
      - 0
    .max_flat_workgroup_size: 1024
    .name:           _Z10testKernelIjEvPT_m
    .private_segment_fixed_size: 0
    .sgpr_count:     13
    .sgpr_spill_count: 0
    .symbol:         _Z10testKernelIjEvPT_m.kd
    .uniform_work_group_size: 1
    .uses_dynamic_stack: false
    .vgpr_count:     3
    .vgpr_spill_count: 0
    .wavefront_size: 64
amdhsa.target:   amdgcn-amd-amdhsa--gfx906
amdhsa.version:
  - 1
  - 2
...

	.end_amdgpu_metadata
